;; amdgpu-corpus repo=ROCm/rocFFT kind=compiled arch=gfx950 opt=O3
	.text
	.amdgcn_target "amdgcn-amd-amdhsa--gfx950"
	.amdhsa_code_object_version 6
	.protected	fft_rtc_back_len1920_factors_10_6_16_2_wgs_240_tpt_120_halfLds_half_ip_CI_sbrr_dirReg ; -- Begin function fft_rtc_back_len1920_factors_10_6_16_2_wgs_240_tpt_120_halfLds_half_ip_CI_sbrr_dirReg
	.globl	fft_rtc_back_len1920_factors_10_6_16_2_wgs_240_tpt_120_halfLds_half_ip_CI_sbrr_dirReg
	.p2align	8
	.type	fft_rtc_back_len1920_factors_10_6_16_2_wgs_240_tpt_120_halfLds_half_ip_CI_sbrr_dirReg,@function
fft_rtc_back_len1920_factors_10_6_16_2_wgs_240_tpt_120_halfLds_half_ip_CI_sbrr_dirReg: ; @fft_rtc_back_len1920_factors_10_6_16_2_wgs_240_tpt_120_halfLds_half_ip_CI_sbrr_dirReg
; %bb.0:
	s_load_dwordx2 s[12:13], s[0:1], 0x18
	s_load_dwordx4 s[4:7], s[0:1], 0x0
	s_load_dwordx2 s[10:11], s[0:1], 0x50
	v_mul_u32_u24_e32 v1, 0x223, v0
	v_lshrrev_b32_e32 v10, 16, v1
	s_waitcnt lgkmcnt(0)
	s_load_dwordx2 s[8:9], s[12:13], 0x0
	v_lshl_add_u32 v6, s2, 1, v10
	v_mov_b32_e32 v4, 0
	v_cmp_lt_u64_e64 s[2:3], s[6:7], 2
	v_mov_b32_e32 v7, v4
	s_and_b64 vcc, exec, s[2:3]
	v_mov_b64_e32 v[2:3], 0
	s_cbranch_vccnz .LBB0_8
; %bb.1:
	s_load_dwordx2 s[2:3], s[0:1], 0x10
	s_add_u32 s14, s12, 8
	s_addc_u32 s15, s13, 0
	s_mov_b64 s[16:17], 1
	v_mov_b64_e32 v[2:3], 0
	s_waitcnt lgkmcnt(0)
	s_add_u32 s18, s2, 8
	s_addc_u32 s19, s3, 0
.LBB0_2:                                ; =>This Inner Loop Header: Depth=1
	s_load_dwordx2 s[20:21], s[18:19], 0x0
                                        ; implicit-def: $vgpr8_vgpr9
	s_waitcnt lgkmcnt(0)
	v_or_b32_e32 v5, s21, v7
	v_cmp_ne_u64_e32 vcc, 0, v[4:5]
	s_and_saveexec_b64 s[2:3], vcc
	s_xor_b64 s[22:23], exec, s[2:3]
	s_cbranch_execz .LBB0_4
; %bb.3:                                ;   in Loop: Header=BB0_2 Depth=1
	v_cvt_f32_u32_e32 v1, s20
	v_cvt_f32_u32_e32 v5, s21
	s_sub_u32 s2, 0, s20
	s_subb_u32 s3, 0, s21
	v_fmac_f32_e32 v1, 0x4f800000, v5
	v_rcp_f32_e32 v1, v1
	s_nop 0
	v_mul_f32_e32 v1, 0x5f7ffffc, v1
	v_mul_f32_e32 v5, 0x2f800000, v1
	v_trunc_f32_e32 v5, v5
	v_fmac_f32_e32 v1, 0xcf800000, v5
	v_cvt_u32_f32_e32 v5, v5
	v_cvt_u32_f32_e32 v1, v1
	v_mul_lo_u32 v8, s2, v5
	v_mul_hi_u32 v11, s2, v1
	v_mul_lo_u32 v9, s3, v1
	v_add_u32_e32 v11, v11, v8
	v_mul_lo_u32 v14, s2, v1
	v_add_u32_e32 v11, v11, v9
	v_mul_hi_u32 v8, v1, v14
	v_mul_hi_u32 v13, v1, v11
	v_mul_lo_u32 v12, v1, v11
	v_mov_b32_e32 v9, v4
	v_lshl_add_u64 v[8:9], v[8:9], 0, v[12:13]
	v_mul_hi_u32 v13, v5, v14
	v_mul_lo_u32 v14, v5, v14
	v_add_co_u32_e32 v8, vcc, v8, v14
	v_mul_hi_u32 v12, v5, v11
	s_nop 0
	v_addc_co_u32_e32 v8, vcc, v9, v13, vcc
	v_mov_b32_e32 v9, v4
	s_nop 0
	v_addc_co_u32_e32 v13, vcc, 0, v12, vcc
	v_mul_lo_u32 v12, v5, v11
	v_lshl_add_u64 v[8:9], v[8:9], 0, v[12:13]
	v_add_co_u32_e32 v1, vcc, v1, v8
	v_mul_lo_u32 v12, s2, v1
	s_nop 0
	v_addc_co_u32_e32 v5, vcc, v5, v9, vcc
	v_mul_lo_u32 v8, s2, v5
	v_mul_hi_u32 v9, s2, v1
	v_add_u32_e32 v8, v9, v8
	v_mul_lo_u32 v9, s3, v1
	v_add_u32_e32 v11, v8, v9
	v_mul_hi_u32 v15, v5, v12
	v_mul_lo_u32 v16, v5, v12
	v_mul_hi_u32 v9, v1, v11
	v_mul_lo_u32 v8, v1, v11
	v_mul_hi_u32 v12, v1, v12
	v_mov_b32_e32 v13, v4
	v_lshl_add_u64 v[8:9], v[12:13], 0, v[8:9]
	v_add_co_u32_e32 v8, vcc, v8, v16
	v_mul_hi_u32 v14, v5, v11
	s_nop 0
	v_addc_co_u32_e32 v8, vcc, v9, v15, vcc
	v_mul_lo_u32 v12, v5, v11
	s_nop 0
	v_addc_co_u32_e32 v13, vcc, 0, v14, vcc
	v_mov_b32_e32 v9, v4
	v_lshl_add_u64 v[8:9], v[8:9], 0, v[12:13]
	v_add_co_u32_e32 v1, vcc, v1, v8
	v_mul_hi_u32 v12, v6, v1
	s_nop 0
	v_addc_co_u32_e32 v5, vcc, v5, v9, vcc
	v_mad_u64_u32 v[8:9], s[2:3], v6, v5, 0
	v_mov_b32_e32 v13, v4
	v_lshl_add_u64 v[8:9], v[12:13], 0, v[8:9]
	v_mad_u64_u32 v[14:15], s[2:3], v7, v1, 0
	v_add_co_u32_e32 v1, vcc, v8, v14
	v_mad_u64_u32 v[12:13], s[2:3], v7, v5, 0
	s_nop 0
	v_addc_co_u32_e32 v8, vcc, v9, v15, vcc
	v_mov_b32_e32 v9, v4
	s_nop 0
	v_addc_co_u32_e32 v13, vcc, 0, v13, vcc
	v_lshl_add_u64 v[8:9], v[8:9], 0, v[12:13]
	v_mul_lo_u32 v1, s21, v8
	v_mul_lo_u32 v5, s20, v9
	v_mad_u64_u32 v[12:13], s[2:3], s20, v8, 0
	v_add3_u32 v1, v13, v5, v1
	v_sub_u32_e32 v5, v7, v1
	v_mov_b32_e32 v11, s21
	v_sub_co_u32_e32 v16, vcc, v6, v12
	v_lshl_add_u64 v[14:15], v[8:9], 0, 1
	s_nop 0
	v_subb_co_u32_e64 v5, s[2:3], v5, v11, vcc
	v_subrev_co_u32_e64 v11, s[2:3], s20, v16
	v_subb_co_u32_e32 v1, vcc, v7, v1, vcc
	s_nop 0
	v_subbrev_co_u32_e64 v5, s[2:3], 0, v5, s[2:3]
	v_cmp_le_u32_e64 s[2:3], s21, v5
	v_cmp_le_u32_e32 vcc, s21, v1
	s_nop 0
	v_cndmask_b32_e64 v12, 0, -1, s[2:3]
	v_cmp_le_u32_e64 s[2:3], s20, v11
	s_nop 1
	v_cndmask_b32_e64 v11, 0, -1, s[2:3]
	v_cmp_eq_u32_e64 s[2:3], s21, v5
	s_nop 1
	v_cndmask_b32_e64 v5, v12, v11, s[2:3]
	v_lshl_add_u64 v[12:13], v[8:9], 0, 2
	v_cmp_ne_u32_e64 s[2:3], 0, v5
	v_cndmask_b32_e64 v11, 0, -1, vcc
	v_cmp_le_u32_e32 vcc, s20, v16
	v_cndmask_b32_e64 v5, v15, v13, s[2:3]
	s_nop 0
	v_cndmask_b32_e64 v13, 0, -1, vcc
	v_cmp_eq_u32_e32 vcc, s21, v1
	s_nop 1
	v_cndmask_b32_e32 v1, v11, v13, vcc
	v_cmp_ne_u32_e32 vcc, 0, v1
	v_cndmask_b32_e64 v1, v14, v12, s[2:3]
	s_nop 0
	v_cndmask_b32_e32 v9, v9, v5, vcc
	v_cndmask_b32_e32 v8, v8, v1, vcc
.LBB0_4:                                ;   in Loop: Header=BB0_2 Depth=1
	s_andn2_saveexec_b64 s[2:3], s[22:23]
	s_cbranch_execz .LBB0_6
; %bb.5:                                ;   in Loop: Header=BB0_2 Depth=1
	v_cvt_f32_u32_e32 v1, s20
	s_sub_i32 s22, 0, s20
	v_rcp_iflag_f32_e32 v1, v1
	s_nop 0
	v_mul_f32_e32 v1, 0x4f7ffffe, v1
	v_cvt_u32_f32_e32 v1, v1
	v_mul_lo_u32 v5, s22, v1
	v_mul_hi_u32 v5, v1, v5
	v_add_u32_e32 v1, v1, v5
	v_mul_hi_u32 v1, v6, v1
	v_mul_lo_u32 v5, v1, s20
	v_sub_u32_e32 v5, v6, v5
	v_add_u32_e32 v8, 1, v1
	v_subrev_u32_e32 v9, s20, v5
	v_cmp_le_u32_e32 vcc, s20, v5
	s_nop 1
	v_cndmask_b32_e32 v5, v5, v9, vcc
	v_cndmask_b32_e32 v1, v1, v8, vcc
	v_add_u32_e32 v8, 1, v1
	v_cmp_le_u32_e32 vcc, s20, v5
	v_mov_b32_e32 v9, v4
	s_nop 0
	v_cndmask_b32_e32 v8, v1, v8, vcc
.LBB0_6:                                ;   in Loop: Header=BB0_2 Depth=1
	s_or_b64 exec, exec, s[2:3]
	v_mad_u64_u32 v[12:13], s[2:3], v8, s20, 0
	s_load_dwordx2 s[2:3], s[14:15], 0x0
	v_mul_lo_u32 v1, v9, s20
	v_mul_lo_u32 v5, v8, s21
	v_add3_u32 v1, v13, v5, v1
	v_sub_co_u32_e32 v5, vcc, v6, v12
	s_add_u32 s16, s16, 1
	s_nop 0
	v_subb_co_u32_e32 v1, vcc, v7, v1, vcc
	s_addc_u32 s17, s17, 0
	s_waitcnt lgkmcnt(0)
	v_mul_lo_u32 v1, s2, v1
	v_mul_lo_u32 v6, s3, v5
	v_mad_u64_u32 v[2:3], s[2:3], s2, v5, v[2:3]
	s_add_u32 s14, s14, 8
	v_add3_u32 v3, v6, v3, v1
	s_addc_u32 s15, s15, 0
	v_mov_b64_e32 v[6:7], s[6:7]
	s_add_u32 s18, s18, 8
	v_cmp_ge_u64_e32 vcc, s[16:17], v[6:7]
	s_addc_u32 s19, s19, 0
	s_cbranch_vccnz .LBB0_9
; %bb.7:                                ;   in Loop: Header=BB0_2 Depth=1
	v_mov_b64_e32 v[6:7], v[8:9]
	s_branch .LBB0_2
.LBB0_8:
	v_mov_b64_e32 v[8:9], v[6:7]
.LBB0_9:
	s_lshl_b64 s[2:3], s[6:7], 3
	s_add_u32 s2, s12, s2
	s_addc_u32 s3, s13, s3
	s_load_dwordx2 s[6:7], s[2:3], 0x0
	s_load_dwordx2 s[12:13], s[0:1], 0x20
                                        ; implicit-def: $vgpr30
                                        ; implicit-def: $vgpr18
                                        ; implicit-def: $vgpr25
                                        ; implicit-def: $vgpr12
                                        ; implicit-def: $vgpr23
                                        ; implicit-def: $vgpr17
                                        ; implicit-def: $vgpr13
                                        ; implicit-def: $vgpr19
                                        ; implicit-def: $vgpr14
                                        ; implicit-def: $vgpr16
                                        ; implicit-def: $vgpr24
                                        ; implicit-def: $vgpr21
                                        ; implicit-def: $vgpr22
                                        ; implicit-def: $vgpr15
                                        ; implicit-def: $vgpr7
                                        ; implicit-def: $vgpr20
                                        ; implicit-def: $vgpr11
                                        ; implicit-def: $vgpr34
                                        ; implicit-def: $vgpr35
                                        ; implicit-def: $vgpr39
                                        ; implicit-def: $vgpr40
                                        ; implicit-def: $vgpr41
                                        ; implicit-def: $vgpr43
                                        ; implicit-def: $vgpr44
                                        ; implicit-def: $vgpr45
	s_waitcnt lgkmcnt(0)
	v_mad_u64_u32 v[4:5], s[0:1], s6, v8, v[2:3]
	v_mul_lo_u32 v1, s6, v9
	v_mul_lo_u32 v6, s7, v8
	s_mov_b32 s0, 0x2222223
	v_add3_u32 v5, v6, v5, v1
	v_mul_hi_u32 v1, v0, s0
	v_mul_u32_u24_e32 v1, 0x78, v1
	v_cmp_gt_u64_e32 vcc, s[12:13], v[8:9]
	v_sub_u32_e32 v2, v0, v1
	v_lshl_add_u64 v[0:1], v[4:5], 2, s[10:11]
                                        ; implicit-def: $vgpr3
                                        ; implicit-def: $vgpr8
                                        ; implicit-def: $vgpr5
                                        ; implicit-def: $vgpr9
                                        ; implicit-def: $vgpr6
                                        ; implicit-def: $vgpr4
	s_and_saveexec_b64 s[2:3], vcc
	s_cbranch_execz .LBB0_13
; %bb.10:
	v_mad_u64_u32 v[4:5], s[0:1], s8, v2, 0
	v_mov_b32_e32 v6, v5
	v_mad_u64_u32 v[6:7], s[0:1], s9, v2, v[6:7]
	v_mov_b32_e32 v5, v6
	v_add_u32_e32 v3, 0xc0, v2
	v_lshl_add_u64 v[6:7], v[4:5], 2, v[0:1]
	v_mad_u64_u32 v[4:5], s[0:1], s8, v3, 0
	v_mov_b32_e32 v8, v5
	v_mad_u64_u32 v[8:9], s[0:1], s9, v3, v[8:9]
	v_mov_b32_e32 v5, v8
	v_or_b32_e32 v3, 0x180, v2
	v_lshl_add_u64 v[8:9], v[4:5], 2, v[0:1]
	v_mad_u64_u32 v[4:5], s[0:1], s8, v3, 0
	v_mov_b32_e32 v12, v5
	v_mad_u64_u32 v[12:13], s[0:1], s9, v3, v[12:13]
	v_mov_b32_e32 v5, v12
	v_add_u32_e32 v3, 0x240, v2
	v_lshl_add_u64 v[12:13], v[4:5], 2, v[0:1]
	v_mad_u64_u32 v[4:5], s[0:1], s8, v3, 0
	v_mov_b32_e32 v14, v5
	v_mad_u64_u32 v[14:15], s[0:1], s9, v3, v[14:15]
	v_mov_b32_e32 v5, v14
	v_or_b32_e32 v3, 0x300, v2
	v_lshl_add_u64 v[14:15], v[4:5], 2, v[0:1]
	;; [unrolled: 12-line block ×3, first 2 shown]
	v_mad_u64_u32 v[4:5], s[0:1], s8, v3, 0
	v_mov_b32_e32 v20, v5
	v_mad_u64_u32 v[20:21], s[0:1], s9, v3, v[20:21]
	v_mov_b32_e32 v5, v20
	v_add_u32_e32 v3, 0x540, v2
	v_lshl_add_u64 v[20:21], v[4:5], 2, v[0:1]
	v_mad_u64_u32 v[4:5], s[0:1], s8, v3, 0
	v_mov_b32_e32 v22, v5
	v_mad_u64_u32 v[22:23], s[0:1], s9, v3, v[22:23]
	v_mov_b32_e32 v5, v22
	v_lshl_add_u64 v[22:23], v[4:5], 2, v[0:1]
	v_or_b32_e32 v5, 0x600, v2
	global_load_dword v3, v[6:7], off
	global_load_dword v4, v[8:9], off
	;; [unrolled: 1-line block ×8, first 2 shown]
	v_mad_u64_u32 v[6:7], s[0:1], s8, v5, 0
	v_mov_b32_e32 v8, v7
	v_mad_u64_u32 v[8:9], s[0:1], s9, v5, v[8:9]
	v_add_u32_e32 v5, 0x6c0, v2
	v_mov_b32_e32 v7, v8
	v_mad_u64_u32 v[8:9], s[0:1], s8, v5, 0
	v_mov_b32_e32 v12, v9
	v_mad_u64_u32 v[12:13], s[0:1], s9, v5, v[12:13]
	v_lshl_add_u64 v[6:7], v[6:7], 2, v[0:1]
	v_mov_b32_e32 v9, v12
	v_lshl_add_u64 v[8:9], v[8:9], 2, v[0:1]
	global_load_dword v36, v[6:7], off
	global_load_dword v33, v[8:9], off
	s_movk_i32 s0, 0x48
	v_cmp_gt_u32_e64 s[0:1], s0, v2
	s_mov_b32 s12, 0x7060302
	s_mov_b32 s11, 0x5040100
	;; [unrolled: 1-line block ×3, first 2 shown]
                                        ; implicit-def: $vgpr11
                                        ; implicit-def: $vgpr20
                                        ; implicit-def: $vgpr7
                                        ; implicit-def: $vgpr15
                                        ; implicit-def: $vgpr22
                                        ; implicit-def: $vgpr21
                                        ; implicit-def: $vgpr24
                                        ; implicit-def: $vgpr16
                                        ; implicit-def: $vgpr6
                                        ; implicit-def: $vgpr14
                                        ; implicit-def: $vgpr9
                                        ; implicit-def: $vgpr19
                                        ; implicit-def: $vgpr5
                                        ; implicit-def: $vgpr13
                                        ; implicit-def: $vgpr8
                                        ; implicit-def: $vgpr17
                                        ; implicit-def: $vgpr23
                                        ; implicit-def: $vgpr12
                                        ; implicit-def: $vgpr25
                                        ; implicit-def: $vgpr18
	s_and_saveexec_b64 s[6:7], s[0:1]
	s_cbranch_execz .LBB0_12
; %bb.11:
	v_add_u32_e32 v5, 0x78, v2
	v_mad_u64_u32 v[6:7], s[0:1], s8, v5, 0
	v_mov_b32_e32 v8, v7
	v_mad_u64_u32 v[8:9], s[0:1], s9, v5, v[8:9]
	v_mov_b32_e32 v7, v8
	v_add_u32_e32 v5, 0x138, v2
	v_lshl_add_u64 v[12:13], v[6:7], 2, v[0:1]
	v_mad_u64_u32 v[6:7], s[0:1], s8, v5, 0
	v_mov_b32_e32 v8, v7
	v_mad_u64_u32 v[8:9], s[0:1], s9, v5, v[8:9]
	v_mov_b32_e32 v7, v8
	v_add_u32_e32 v5, 0x1f8, v2
	v_lshl_add_u64 v[14:15], v[6:7], 2, v[0:1]
	;; [unrolled: 6-line block ×7, first 2 shown]
	v_mad_u64_u32 v[6:7], s[0:1], s8, v5, 0
	v_mov_b32_e32 v8, v7
	v_mad_u64_u32 v[8:9], s[0:1], s9, v5, v[8:9]
	v_mov_b32_e32 v7, v8
	v_lshl_add_u64 v[40:41], v[6:7], 2, v[0:1]
	global_load_dword v25, v[12:13], off
	global_load_dword v23, v[14:15], off
	;; [unrolled: 1-line block ×8, first 2 shown]
	v_add_u32_e32 v15, 0x678, v2
	v_mad_u64_u32 v[12:13], s[0:1], s8, v15, 0
	v_mov_b32_e32 v14, v13
	v_mad_u64_u32 v[14:15], s[0:1], s9, v15, v[14:15]
	v_add_u32_e32 v17, 0x738, v2
	v_mov_b32_e32 v13, v14
	v_mad_u64_u32 v[14:15], s[0:1], s8, v17, 0
	v_mov_b32_e32 v16, v15
	v_mad_u64_u32 v[16:17], s[0:1], s9, v17, v[16:17]
	v_lshl_add_u64 v[12:13], v[12:13], 2, v[0:1]
	v_mov_b32_e32 v15, v16
	v_lshl_add_u64 v[14:15], v[14:15], 2, v[0:1]
	global_load_dword v22, v[12:13], off
	global_load_dword v24, v[14:15], off
	s_waitcnt vmcnt(9)
	v_lshrrev_b32_e32 v18, 16, v25
	s_waitcnt vmcnt(8)
	v_lshrrev_b32_e32 v12, 16, v23
	;; [unrolled: 2-line block ×10, first 2 shown]
.LBB0_12:
	s_or_b64 exec, exec, s[6:7]
	s_waitcnt vmcnt(9)
	v_lshrrev_b32_e32 v30, 16, v3
	s_waitcnt vmcnt(5)
	v_perm_b32 v34, v31, v27, s12
	s_waitcnt vmcnt(1)
	v_perm_b32 v35, v32, v36, s12
	v_perm_b32 v39, v27, v31, s11
	;; [unrolled: 1-line block ×3, first 2 shown]
	v_bfi_b32 v41, s10, v26, v28
	v_bfi_b32 v43, s10, v28, v26
	s_waitcnt vmcnt(0)
	v_bfi_b32 v44, s10, v33, v29
	v_bfi_b32 v45, s10, v29, v33
.LBB0_13:
	s_or_b64 exec, exec, s[2:3]
	v_and_b32_e32 v10, 1, v10
	v_mov_b32_e32 v26, 0x780
	v_cmp_eq_u32_e64 s[0:1], 1, v10
	v_pk_add_f16 v29, v43, v45 neg_lo:[0,1] neg_hi:[0,1]
	v_pk_add_f16 v31, v43, v45
	v_cndmask_b32_e64 v28, 0, v26, s[0:1]
	s_movk_i32 s0, 0x3b9c
	v_pk_fma_f16 v31, v31, 0.5, v4 op_sel_hi:[1,0,1] neg_lo:[1,0,0] neg_hi:[1,0,0]
	v_pk_mul_f16 v32, v29, s0 op_sel_hi:[1,0]
	v_pk_add_f16 v36, v41, v44 neg_lo:[0,1] neg_hi:[0,1]
	s_movk_i32 s1, 0x38b4
	v_pk_add_f16 v38, v41, v43 neg_lo:[0,1] neg_hi:[0,1]
	v_pk_add_f16 v42, v44, v45 neg_lo:[0,1] neg_hi:[0,1]
	v_pk_add_f16 v33, v31, v32 op_sel:[0,1] op_sel_hi:[1,0]
	v_pk_mul_f16 v37, v36, s1 op_sel_hi:[1,0]
	v_pk_add_f16 v38, v38, v42
	s_movk_i32 s2, 0x34f2
	v_pk_mul_f16 v42, v38, s2 op_sel_hi:[1,0]
	v_add_f16_sdwa v46, v37, v33 dst_sel:DWORD dst_unused:UNUSED_PAD src0_sel:WORD_1 src1_sel:DWORD
	v_add_f16_e32 v49, v42, v46
	v_pk_add_f16 v46, v41, v44
	v_pk_add_f16 v50, v43, v41 neg_lo:[0,1] neg_hi:[0,1]
	v_pk_fma_f16 v46, v46, 0.5, v4 op_sel_hi:[1,0,1] neg_lo:[1,0,0] neg_hi:[1,0,0]
	v_pk_add_f16 v51, v45, v44 neg_lo:[0,1] neg_hi:[0,1]
	v_pk_fma_f16 v47, v36, s0, v46 op_sel:[0,0,1] op_sel_hi:[1,0,0] neg_lo:[1,0,0] neg_hi:[1,0,0]
	v_pk_fma_f16 v36, v36, s0, v46 op_sel:[0,0,1] op_sel_hi:[1,0,0]
	v_pk_mul_f16 v48, v29, s1 op_sel_hi:[1,0]
	v_pk_add_f16 v50, v50, v51
	v_pk_fma_f16 v46, v29, s1, v36 op_sel_hi:[1,0,1]
	v_pk_fma_f16 v29, v29, s1, v36 op_sel_hi:[1,0,1] neg_lo:[1,0,0] neg_hi:[1,0,0]
	s_mov_b32 s3, 0xffff
	v_pk_mul_f16 v51, v50, s2 op_sel_hi:[1,0]
	v_bfi_b32 v29, s3, v46, v29
	v_add_f16_sdwa v50, v48, v47 dst_sel:DWORD dst_unused:UNUSED_PAD src0_sel:WORD_1 src1_sel:WORD_1
	v_pk_add_f16 v52, v51, v29 op_sel:[1,0] op_sel_hi:[0,1]
	v_sub_f16_e32 v29, v47, v48
	v_add_f16_sdwa v10, v39, v3 dst_sel:DWORD dst_unused:UNUSED_PAD src0_sel:WORD_1 src1_sel:DWORD
	v_add_f16_e32 v26, v4, v41
	v_add_f16_e32 v50, v51, v50
	v_add_f16_sdwa v51, v51, v29 dst_sel:DWORD dst_unused:UNUSED_PAD src0_sel:WORD_1 src1_sel:DWORD
	v_pk_add_f16 v29, v31, v32 op_sel:[0,1] op_sel_hi:[1,0] neg_lo:[0,1] neg_hi:[0,1]
	v_add_f16_e32 v10, v10, v39
	v_add_f16_e32 v26, v26, v43
	v_pk_add_f16 v31, v29, v37 op_sel:[0,1] op_sel_hi:[1,0] neg_lo:[0,1] neg_hi:[0,1]
	v_pk_add_f16 v29, v29, v37 op_sel:[0,1] op_sel_hi:[1,0]
	v_add_f16_e32 v10, v10, v40
	v_add_f16_e32 v26, v26, v45
	v_bfi_b32 v29, s3, v31, v29
	v_add_f16_sdwa v10, v10, v40 dst_sel:DWORD dst_unused:UNUSED_PAD src0_sel:DWORD src1_sel:WORD_1
	v_add_f16_e32 v26, v26, v44
	v_pk_fma_f16 v53, v38, s2, v29 op_sel_hi:[1,0,1]
	v_sub_f16_sdwa v29, v33, v37 dst_sel:DWORD dst_unused:UNUSED_PAD src0_sel:WORD_1 src1_sel:DWORD
	v_add_f16_e32 v27, v10, v26
	v_add_f16_sdwa v54, v42, v29 dst_sel:DWORD dst_unused:UNUSED_PAD src0_sel:WORD_1 src1_sel:DWORD
	v_sub_f16_e32 v42, v10, v26
	v_add_f16_e32 v10, v25, v8
	v_mul_f16_e32 v29, 0xbb9c, v54
	s_mov_b32 s7, 0xb4f2
	v_add_f16_e32 v10, v10, v9
	v_fma_f16 v37, v50, s7, v29
	v_mul_f16_e32 v29, 0xb8b4, v51
	s_mov_b32 s11, 0xba79
	v_add_f16_e32 v10, v10, v11
	v_fma_f16 v38, v49, s11, v29
	v_add_f16_e32 v29, v22, v10
	v_add_f16_e32 v10, v9, v11
	s_mov_b32 s6, 0xbb9c
	v_fma_f16 v10, v10, -0.5, v25
	v_sub_f16_e32 v26, v17, v21
	s_mov_b32 s10, 0xb8b4
	v_fma_f16 v31, v26, s6, v10
	v_sub_f16_e32 v33, v19, v20
	v_sub_f16_e32 v32, v8, v9
	;; [unrolled: 1-line block ×3, first 2 shown]
	v_fma_f16 v10, v26, s0, v10
	v_fma_f16 v31, v33, s10, v31
	v_add_f16_e32 v32, v32, v36
	v_fma_f16 v10, v33, s1, v10
	v_fma_f16 v31, v32, s2, v31
	;; [unrolled: 1-line block ×3, first 2 shown]
	v_add_f16_e32 v10, v8, v22
	v_fma_f16 v10, v10, -0.5, v25
	v_fma_f16 v25, v33, s0, v10
	v_sub_f16_e32 v36, v9, v8
	v_sub_f16_e32 v46, v11, v22
	v_fma_f16 v10, v33, s6, v10
	v_add_f16_e32 v36, v36, v46
	v_fma_f16 v10, v26, s1, v10
	v_fma_f16 v33, v36, s2, v10
	v_add_f16_e32 v10, v23, v5
	v_add_f16_e32 v10, v10, v6
	v_fma_f16 v25, v26, s10, v25
	v_add_f16_e32 v10, v10, v7
	v_fma_f16 v25, v36, s2, v25
	v_add_f16_e32 v36, v24, v10
	v_add_f16_e32 v10, v6, v7
	v_fma_f16 v10, v10, -0.5, v23
	v_sub_f16_e32 v26, v13, v16
	v_fma_f16 v46, v26, s6, v10
	v_sub_f16_e32 v47, v14, v15
	v_sub_f16_e32 v48, v5, v6
	;; [unrolled: 1-line block ×3, first 2 shown]
	v_fma_f16 v10, v26, s0, v10
	v_add_f16_e32 v48, v48, v55
	v_fma_f16 v10, v47, s1, v10
	v_fma_f16 v55, v48, s2, v10
	v_add_f16_e32 v10, v5, v24
	v_fma_f16 v46, v47, s10, v46
	v_fma_f16 v10, v10, -0.5, v23
	v_fma_f16 v56, v48, s2, v46
	v_fma_f16 v23, v47, s0, v10
	v_sub_f16_e32 v46, v6, v5
	v_sub_f16_e32 v48, v7, v24
	v_fma_f16 v10, v47, s6, v10
	v_add_f16_e32 v46, v46, v48
	v_fma_f16 v10, v26, s1, v10
	v_fma_f16 v58, v46, s2, v10
	v_add_f16_e32 v10, v14, v15
	v_fma_f16 v23, v26, s10, v23
	v_fma_f16 v10, v10, -0.5, v12
	v_sub_f16_e32 v5, v5, v24
	v_fma_f16 v57, v46, s2, v23
	v_fma_f16 v23, v5, s0, v10
	v_sub_f16_e32 v6, v6, v7
	v_fma_f16 v7, v6, s1, v23
	v_sub_f16_e32 v23, v13, v14
	v_sub_f16_e32 v24, v16, v15
	v_add_f16_e32 v23, v23, v24
	v_fma_f16 v60, v23, s2, v7
	v_fma_f16 v7, v5, s6, v10
	;; [unrolled: 1-line block ×4, first 2 shown]
	v_add_f16_e32 v7, v13, v16
	v_fma_f16 v7, v7, -0.5, v12
	v_fma_f16 v10, v6, s6, v7
	v_sub_f16_e32 v23, v14, v13
	v_sub_f16_e32 v24, v15, v16
	v_fma_f16 v6, v6, s0, v7
	v_fma_f16 v10, v5, s1, v10
	v_add_f16_e32 v23, v23, v24
	v_fma_f16 v5, v5, s10, v6
	v_fma_f16 v61, v23, s2, v10
	;; [unrolled: 1-line block ×3, first 2 shown]
	v_pk_add_f16 v23, v39, v40
	v_pk_add_f16 v10, v34, v35 neg_lo:[0,1] neg_hi:[0,1]
	v_pk_fma_f16 v3, v23, 0.5, v3 op_sel_hi:[1,0,0] neg_lo:[1,0,0] neg_hi:[1,0,0]
	v_pk_mul_f16 v46, v10, s1 op_sel_hi:[1,0]
	v_pk_fma_f16 v26, v10, s0, v3 op_sel_hi:[1,0,1]
	v_pk_fma_f16 v3, v10, s0, v3 op_sel_hi:[1,0,1] neg_lo:[1,0,0] neg_hi:[1,0,0]
	v_pk_add_f16 v23, v39, v39 op_sel:[1,0] op_sel_hi:[0,1] neg_lo:[0,1] neg_hi:[0,1]
	v_pk_add_f16 v24, v40, v40 op_sel:[1,0] op_sel_hi:[0,1] neg_lo:[0,1] neg_hi:[0,1]
	v_bfi_b32 v10, s3, v3, v26
	v_pk_add_f16 v23, v23, v24
	v_pk_add_f16 v10, v10, v46 op_sel:[0,1] op_sel_hi:[1,0] neg_lo:[0,1] neg_hi:[0,1]
	v_pk_mul_f16 v47, v23, s2 op_sel_hi:[1,0]
	v_pk_fma_f16 v48, v23, s2, v10 op_sel_hi:[1,0,1]
	v_add_f16_sdwa v3, v46, v3 dst_sel:DWORD dst_unused:UNUSED_PAD src0_sel:DWORD src1_sel:WORD_1
	v_bfi_b32 v10, s3, v52, v53
	s_mov_b32 s1, 0xbb9cb8b4
	v_add_f16_sdwa v64, v47, v3 dst_sel:DWORD dst_unused:UNUSED_PAD src0_sel:WORD_1 src1_sel:DWORD
	v_bfi_b32 v3, s3, v53, v52
	s_mov_b32 s0, 0x34f23a79
	v_pk_mul_f16 v10, v10, s1
	v_mul_u32_u24_e32 v7, 10, v2
	v_pk_fma_f16 v65, v3, s0, v10
	v_mul_f16_e32 v6, 0xbb9c, v61
	v_lshl_add_u32 v7, v7, 1, 0
	v_pk_add_f16 v3, v48, v65
	v_add_f16_e32 v10, v64, v37
	v_fma_f16 v6, v57, s2, v6
	v_alignbit_b32 v10, v10, v3, 16
	v_pack_b32_f16 v3, v27, v3
	v_lshl_add_u32 v63, v28, 1, v7
	ds_write2_b32 v63, v3, v10 offset1:1
	v_add_f16_e32 v10, v25, v6
	v_sub_f16_e32 v23, v25, v6
	v_add_f16_sdwa v25, v46, v26 dst_sel:DWORD dst_unused:UNUSED_PAD src0_sel:WORD_1 src1_sel:DWORD
	v_mul_f16_e32 v5, 0xb8b4, v60
	s_movk_i32 s6, 0x3a79
	v_mul_f16_e32 v3, 0xbb9c, v62
	v_mul_f16_e32 v6, 0xb8b4, v59
	v_add_f16_e32 v26, v47, v25
	v_fma_f16 v5, v56, s6, v5
	v_fma_f16 v3, v58, s7, v3
	;; [unrolled: 1-line block ×3, first 2 shown]
	v_sub_f16_e32 v37, v64, v37
	v_add_f16_e32 v46, v26, v38
	v_sub_f16_e32 v38, v26, v38
	s_movk_i32 s0, 0x48
	v_add_f16_e32 v24, v33, v3
	v_add_f16_e32 v25, v32, v6
	v_sub_f16_e32 v26, v29, v36
	v_pk_add_f16 v47, v48, v65 neg_lo:[0,1] neg_hi:[0,1]
	v_sub_f16_e32 v27, v31, v5
	v_pack_b32_f16 v42, v46, v42
	v_pack_b32_f16 v37, v37, v38
	v_cmp_gt_u32_e64 s[2:3], s0, v2
	ds_write2_b32 v63, v42, v47 offset0:2 offset1:3
	ds_write_b32 v63, v37 offset:16
	s_and_saveexec_b64 s[0:1], s[2:3]
	s_cbranch_execz .LBB0_15
; %bb.14:
	v_add_f16_e32 v5, v31, v5
	v_add_f16_e32 v29, v36, v29
	s_mov_b32 s6, 0x5040100
	v_sub_f16_e32 v6, v32, v6
	v_sub_f16_e32 v3, v33, v3
	v_add_u32_e32 v31, 0x960, v63
	v_perm_b32 v32, v24, v10, s6
	v_pack_b32_f16 v5, v29, v5
	ds_write2_b32 v31, v5, v32 offset1:1
	v_add_u32_e32 v5, 0x968, v63
	v_perm_b32 v29, v23, v27, s6
	v_perm_b32 v31, v26, v25, s6
	v_pack_b32_f16 v3, v3, v6
	ds_write2_b32 v5, v31, v29 offset1:1
	ds_write_b32 v63, v3 offset:2416
.LBB0_15:
	s_or_b64 exec, exec, s[0:1]
	v_lshlrev_b32_e32 v3, 1, v28
	v_lshlrev_b32_e32 v5, 1, v2
	v_mul_i32_i24_e32 v28, 0xffffffee, v2
	v_add3_u32 v6, 0, v3, v5
	v_add3_u32 v7, v7, v28, v3
	s_waitcnt lgkmcnt(0)
	s_barrier
	ds_read_u16 v29, v6
	ds_read_u16 v42, v7 offset:2560
	ds_read_u16 v33, v7 offset:2160
	;; [unrolled: 1-line block ×11, first 2 shown]
	s_movk_i32 s0, 0x50
	v_cmp_gt_u32_e64 s[0:1], s0, v2
	s_and_saveexec_b64 s[6:7], s[0:1]
	s_cbranch_execz .LBB0_17
; %bb.16:
	ds_read_u16 v10, v7 offset:480
	ds_read_u16 v24, v7 offset:1120
	;; [unrolled: 1-line block ×6, first 2 shown]
.LBB0_17:
	s_or_b64 exec, exec, s[6:7]
	v_add_f16_e32 v64, v34, v30
	v_pk_add_f16 v39, v39, v40 neg_lo:[0,1] neg_hi:[0,1]
	v_pk_add_f16 v40, v34, v35
	v_add_f16_sdwa v64, v64, v34 dst_sel:DWORD dst_unused:UNUSED_PAD src0_sel:DWORD src1_sel:WORD_1
	v_add_f16_sdwa v4, v4, v43 dst_sel:DWORD dst_unused:UNUSED_PAD src0_sel:WORD_1 src1_sel:WORD_1
	v_pk_fma_f16 v30, v40, -0.5, v30 op_sel_hi:[1,0,0]
	s_movk_i32 s6, 0x3b9c
	s_movk_i32 s7, 0x38b4
	v_add_f16_sdwa v64, v64, v35 dst_sel:DWORD dst_unused:UNUSED_PAD src0_sel:DWORD src1_sel:WORD_1
	v_add_f16_sdwa v4, v4, v41 dst_sel:DWORD dst_unused:UNUSED_PAD src0_sel:DWORD src1_sel:WORD_1
	v_pk_fma_f16 v40, v39, s6, v30 op_sel_hi:[1,0,1] neg_lo:[1,0,0] neg_hi:[1,0,0]
	v_pk_mul_f16 v43, v39, s7 op_sel_hi:[1,0]
	v_pk_fma_f16 v30, v39, s6, v30 op_sel_hi:[1,0,1]
	v_add_f16_e32 v64, v64, v35
	v_add_f16_sdwa v4, v4, v44 dst_sel:DWORD dst_unused:UNUSED_PAD src0_sel:DWORD src1_sel:WORD_1
	v_pk_add_f16 v34, v34, v34 op_sel:[0,1] op_sel_hi:[1,0] neg_lo:[0,1] neg_hi:[0,1]
	v_pk_add_f16 v35, v35, v35 op_sel:[0,1] op_sel_hi:[1,0] neg_lo:[0,1] neg_hi:[0,1]
	v_sub_f16_sdwa v44, v40, v43 dst_sel:DWORD dst_unused:UNUSED_PAD src0_sel:WORD_1 src1_sel:DWORD
	v_alignbit_b32 v40, v40, v30, 16
	v_add_f16_sdwa v4, v4, v45 dst_sel:DWORD dst_unused:UNUSED_PAD src0_sel:DWORD src1_sel:WORD_1
	v_pk_add_f16 v34, v34, v35
	s_movk_i32 s10, 0x34f2
	v_pk_fma_f16 v39, v39, s7, v40 op_sel_hi:[1,0,1]
	v_mul_f16_e32 v40, 0x34f2, v54
	v_add_f16_e32 v41, v64, v4
	v_pk_mul_f16 v35, v34, s10 op_sel_hi:[1,0]
	v_sub_f16_sdwa v30, v30, v43 dst_sel:DWORD dst_unused:UNUSED_PAD src0_sel:DWORD src1_sel:WORD_1
	s_mov_b32 s11, 0x3b9c3a79
	v_fma_f16 v40, v50, s6, -v40
	v_sub_f16_e32 v50, v64, v4
	v_add_f16_e32 v4, v18, v17
	v_add_f16_e32 v44, v35, v44
	v_add_f16_sdwa v30, v35, v30 dst_sel:DWORD dst_unused:UNUSED_PAD src0_sel:WORD_1 src1_sel:DWORD
	v_pk_mul_f16 v35, v52, s11
	s_mov_b32 s11, 0x34f238b4
	v_add_f16_e32 v4, v4, v19
	v_pk_fma_f16 v34, v34, s10, v39 op_sel_hi:[1,0,1]
	v_pk_fma_f16 v35, v53, s11, v35
	v_add_f16_e32 v4, v4, v20
	v_pk_add_f16 v39, v34, v35
	v_add_f16_e32 v43, v30, v40
	v_mul_f16_e32 v45, 0x3a79, v51
	v_pk_add_f16 v34, v34, v35 neg_lo:[0,1] neg_hi:[0,1]
	v_sub_f16_e32 v35, v30, v40
	v_add_f16_e32 v30, v21, v4
	v_add_f16_e32 v4, v19, v20
	v_fma_f16 v45, v49, s7, -v45
	v_fma_f16 v4, v4, -0.5, v18
	v_sub_f16_e32 v8, v8, v22
	v_add_f16_e32 v49, v44, v45
	v_sub_f16_e32 v40, v44, v45
	v_fma_f16 v22, v8, s6, v4
	v_sub_f16_e32 v44, v9, v11
	s_mov_b32 s12, 0xbb9c
	v_fma_f16 v9, v44, s7, v22
	v_sub_f16_e32 v11, v17, v19
	v_sub_f16_e32 v22, v21, v20
	v_fma_f16 v4, v8, s12, v4
	s_mov_b32 s13, 0xb8b4
	v_add_f16_e32 v11, v11, v22
	v_fma_f16 v4, v44, s13, v4
	v_fma_f16 v9, v11, s10, v9
	v_fma_f16 v11, v11, s10, v4
	v_add_f16_e32 v4, v17, v21
	v_fma_f16 v4, v4, -0.5, v18
	v_fma_f16 v18, v44, s12, v4
	v_sub_f16_e32 v17, v19, v17
	v_sub_f16_e32 v19, v20, v21
	v_fma_f16 v4, v44, s6, v4
	v_fma_f16 v18, v8, s7, v18
	v_add_f16_e32 v17, v17, v19
	v_fma_f16 v4, v8, s13, v4
	v_fma_f16 v22, v17, s10, v18
	;; [unrolled: 1-line block ×3, first 2 shown]
	v_add_f16_e32 v4, v12, v13
	v_add_f16_e32 v4, v4, v14
	;; [unrolled: 1-line block ×3, first 2 shown]
	s_movk_i32 s11, 0x3a79
	v_add_f16_e32 v12, v16, v4
	v_mul_f16_e32 v4, 0x38b4, v56
	v_fma_f16 v19, v60, s11, v4
	v_mul_f16_e32 v4, 0x34f2, v61
	v_fma_f16 v8, v57, s6, v4
	v_add_f16_e32 v4, v22, v8
	v_mul_f16_e32 v13, 0x34f2, v62
	v_mul_f16_e32 v14, 0x3a79, v59
	v_sub_f16_e32 v16, v22, v8
	v_pack_b32_f16 v22, v41, v39
	v_alignbit_b32 v39, v43, v39, 16
	v_fma_f16 v20, v58, s6, -v13
	v_fma_f16 v21, v55, s7, -v14
	s_waitcnt lgkmcnt(0)
	s_barrier
	ds_write2_b32 v63, v22, v39 offset1:1
	v_pack_b32_f16 v22, v49, v50
	v_add_f16_e32 v13, v18, v20
	v_add_f16_e32 v14, v11, v21
	v_sub_f16_e32 v15, v30, v12
	v_sub_f16_e32 v17, v9, v19
	v_add_u32_e32 v8, 0x78, v2
	ds_write2_b32 v63, v22, v34 offset0:2 offset1:3
	v_pack_b32_f16 v22, v35, v40
	ds_write_b32 v63, v22 offset:16
	s_and_saveexec_b64 s[6:7], s[2:3]
	s_cbranch_execz .LBB0_19
; %bb.18:
	v_add_f16_e32 v9, v9, v19
	v_mul_u32_u24_e32 v19, 10, v8
	v_add_f16_e32 v12, v12, v30
	v_lshlrev_b32_e32 v19, 1, v19
	s_mov_b32 s2, 0x5040100
	v_sub_f16_e32 v18, v18, v20
	v_add3_u32 v19, 0, v19, v3
	v_perm_b32 v20, v13, v4, s2
	v_pack_b32_f16 v9, v12, v9
	v_sub_f16_e32 v11, v11, v21
	ds_write2_b32 v19, v9, v20 offset1:1
	v_perm_b32 v9, v16, v17, s2
	v_perm_b32 v12, v15, v14, s2
	ds_write2_b32 v19, v12, v9 offset0:2 offset1:3
	v_pack_b32_f16 v9, v18, v11
	ds_write_b32 v19, v9 offset:16
.LBB0_19:
	s_or_b64 exec, exec, s[6:7]
	s_waitcnt lgkmcnt(0)
	s_barrier
	ds_read_u16 v12, v6
	ds_read_u16 v34, v7 offset:2560
	ds_read_u16 v20, v7 offset:2160
	;; [unrolled: 1-line block ×11, first 2 shown]
	s_and_saveexec_b64 s[2:3], s[0:1]
	s_cbranch_execz .LBB0_21
; %bb.20:
	ds_read_u16 v4, v7 offset:480
	ds_read_u16 v13, v7 offset:1120
	ds_read_u16 v14, v7 offset:1760
	ds_read_u16 v15, v7 offset:2400
	ds_read_u16 v17, v7 offset:3040
	ds_read_u16 v16, v7 offset:3680
.LBB0_21:
	s_or_b64 exec, exec, s[2:3]
	s_movk_i32 s2, 0xcd
	v_mul_lo_u16_sdwa v9, v2, s2 dst_sel:DWORD dst_unused:UNUSED_PAD src0_sel:BYTE_0 src1_sel:DWORD
	v_lshrrev_b16_e32 v49, 11, v9
	v_mul_lo_u16_sdwa v43, v8, s2 dst_sel:DWORD dst_unused:UNUSED_PAD src0_sel:BYTE_0 src1_sel:DWORD
	v_mul_lo_u16_e32 v9, 10, v49
	v_lshrrev_b16_e32 v63, 11, v43
	v_sub_u16_e32 v62, v2, v9
	v_mov_b32_e32 v9, 5
	v_mul_lo_u16_e32 v43, 10, v63
	v_mul_u32_u24_sdwa v39, v62, v9 dst_sel:DWORD dst_unused:UNUSED_PAD src0_sel:BYTE_0 src1_sel:DWORD
	v_sub_u16_e32 v64, v8, v43
	v_lshlrev_b32_e32 v39, 2, v39
	v_mul_u32_u24_sdwa v9, v64, v9 dst_sel:DWORD dst_unused:UNUSED_PAD src0_sel:BYTE_0 src1_sel:DWORD
	global_load_dwordx4 v[50:53], v39, s[4:5]
	global_load_dword v44, v39, s[4:5] offset:16
	v_lshlrev_b32_e32 v39, 2, v9
	v_add_u32_e32 v9, 0xf0, v2
	s_mov_b32 s2, 0xcccd
	v_mul_u32_u24_sdwa v43, v9, s2 dst_sel:DWORD dst_unused:UNUSED_PAD src0_sel:WORD_0 src1_sel:DWORD
	v_lshrrev_b32_e32 v65, 19, v43
	v_mul_lo_u16_e32 v43, 10, v65
	v_sub_u16_e32 v66, v9, v43
	global_load_dwordx4 v[54:57], v39, s[4:5]
	global_load_dword v45, v39, s[4:5] offset:16
	v_mul_u32_u24_e32 v43, 5, v66
	v_lshlrev_b32_e32 v39, 2, v43
	global_load_dwordx4 v[58:61], v39, s[4:5]
	global_load_dword v67, v39, s[4:5] offset:16
	s_mov_b32 s7, 0xbaee
	s_movk_i32 s6, 0x3aee
	s_movk_i32 s2, 0x78
	v_mad_u32_u24 v49, v49, s2, 0
	s_waitcnt lgkmcnt(0)
	s_barrier
	s_waitcnt vmcnt(5)
	v_mul_f16_sdwa v39, v35, v50 dst_sel:DWORD dst_unused:UNUSED_PAD src0_sel:DWORD src1_sel:WORD_1
	v_mul_f16_sdwa v43, v48, v50 dst_sel:DWORD dst_unused:UNUSED_PAD src0_sel:DWORD src1_sel:WORD_1
	;; [unrolled: 1-line block ×8, first 2 shown]
	v_fma_f16 v48, v48, v50, v39
	s_waitcnt vmcnt(3)
	v_mul_f16_sdwa v76, v30, v54 dst_sel:DWORD dst_unused:UNUSED_PAD src0_sel:DWORD src1_sel:WORD_1
	v_fma_f16 v35, v35, v50, -v43
	v_mul_f16_sdwa v50, v38, v54 dst_sel:DWORD dst_unused:UNUSED_PAD src0_sel:DWORD src1_sel:WORD_1
	v_mul_f16_sdwa v74, v19, v44 dst_sel:DWORD dst_unused:UNUSED_PAD src0_sel:DWORD src1_sel:WORD_1
	v_fma_f16 v39, v47, v51, v68
	v_fma_f16 v41, v41, v51, -v69
	v_fma_f16 v46, v46, v52, v70
	v_fma_f16 v40, v40, v52, -v71
	v_mul_f16_sdwa v52, v33, v56 dst_sel:DWORD dst_unused:UNUSED_PAD src0_sel:DWORD src1_sel:WORD_1
	v_fma_f16 v42, v42, v53, v72
	v_mul_f16_sdwa v69, v21, v57 dst_sel:DWORD dst_unused:UNUSED_PAD src0_sel:DWORD src1_sel:WORD_1
	v_fma_f16 v43, v34, v53, -v73
	v_mul_f16_sdwa v34, v36, v57 dst_sel:DWORD dst_unused:UNUSED_PAD src0_sel:DWORD src1_sel:WORD_1
	s_waitcnt vmcnt(1)
	v_mul_f16_sdwa v72, v24, v58 dst_sel:DWORD dst_unused:UNUSED_PAD src0_sel:DWORD src1_sel:WORD_1
	v_fma_f16 v73, v38, v54, v76
	v_fma_f16 v38, v30, v54, -v50
	v_mul_f16_sdwa v50, v25, v59 dst_sel:DWORD dst_unused:UNUSED_PAD src0_sel:DWORD src1_sel:WORD_1
	v_mul_f16_sdwa v75, v32, v44 dst_sel:DWORD dst_unused:UNUSED_PAD src0_sel:DWORD src1_sel:WORD_1
	v_mul_f16_sdwa v68, v20, v56 dst_sel:DWORD dst_unused:UNUSED_PAD src0_sel:DWORD src1_sel:WORD_1
	v_mul_f16_sdwa v71, v13, v58 dst_sel:DWORD dst_unused:UNUSED_PAD src0_sel:DWORD src1_sel:WORD_1
	v_mul_f16_sdwa v76, v14, v59 dst_sel:DWORD dst_unused:UNUSED_PAD src0_sel:DWORD src1_sel:WORD_1
	v_fma_f16 v20, v20, v56, -v52
	v_mul_f16_sdwa v52, v27, v61 dst_sel:DWORD dst_unused:UNUSED_PAD src0_sel:DWORD src1_sel:WORD_1
	v_fma_f16 v36, v36, v57, v69
	v_fma_f16 v21, v21, v57, -v34
	v_fma_f16 v57, v32, v44, v74
	v_fma_f16 v30, v13, v58, -v72
	v_fma_f16 v32, v14, v59, -v50
	v_add_f16_e32 v13, v29, v39
	v_add_f16_e32 v14, v39, v42
	v_fma_f16 v54, v33, v56, v68
	v_mul_f16_sdwa v33, v17, v61 dst_sel:DWORD dst_unused:UNUSED_PAD src0_sel:DWORD src1_sel:WORD_1
	v_fma_f16 v34, v17, v61, -v52
	v_add_f16_e32 v17, v13, v42
	v_fma_f16 v13, v14, -0.5, v29
	v_sub_f16_e32 v14, v41, v43
	v_mul_f16_sdwa v51, v37, v55 dst_sel:DWORD dst_unused:UNUSED_PAD src0_sel:DWORD src1_sel:WORD_1
	v_mul_f16_sdwa v53, v18, v45 dst_sel:DWORD dst_unused:UNUSED_PAD src0_sel:DWORD src1_sel:WORD_1
	v_mul_f16_sdwa v70, v31, v45 dst_sel:DWORD dst_unused:UNUSED_PAD src0_sel:DWORD src1_sel:WORD_1
	v_fma_f16 v33, v27, v61, v33
	v_fma_f16 v27, v14, s7, v13
	v_fma_f16 v29, v14, s6, v13
	v_add_f16_e32 v13, v48, v46
	v_mul_f16_sdwa v47, v22, v55 dst_sel:DWORD dst_unused:UNUSED_PAD src0_sel:DWORD src1_sel:WORD_1
	v_fma_f16 v22, v22, v55, -v51
	v_mul_f16_sdwa v51, v26, v60 dst_sel:DWORD dst_unused:UNUSED_PAD src0_sel:DWORD src1_sel:WORD_1
	v_fma_f16 v19, v19, v44, -v75
	v_fma_f16 v44, v31, v45, v53
	v_fma_f16 v18, v18, v45, -v70
	v_add_f16_e32 v45, v13, v57
	v_add_f16_e32 v13, v46, v57
	v_fma_f16 v37, v37, v55, v47
	v_mul_f16_sdwa v47, v15, v60 dst_sel:DWORD dst_unused:UNUSED_PAD src0_sel:DWORD src1_sel:WORD_1
	v_fma_f16 v31, v25, v59, v76
	v_fma_f16 v25, v15, v60, -v51
	v_fma_f16 v13, v13, -0.5, v48
	v_sub_f16_e32 v15, v40, v19
	v_fma_f16 v14, v15, s7, v13
	v_fma_f16 v13, v15, s6, v13
	v_add_f16_e32 v15, v40, v19
	s_waitcnt vmcnt(0)
	v_mul_f16_sdwa v56, v23, v67 dst_sel:DWORD dst_unused:UNUSED_PAD src0_sel:DWORD src1_sel:WORD_1
	v_fma_f16 v15, v15, -0.5, v35
	v_sub_f16_e32 v46, v46, v57
	v_mul_f16_sdwa v55, v16, v67 dst_sel:DWORD dst_unused:UNUSED_PAD src0_sel:DWORD src1_sel:WORD_1
	v_fma_f16 v50, v26, v60, v47
	v_fma_f16 v26, v16, v67, -v56
	v_fma_f16 v16, v46, s6, v15
	v_fma_f16 v15, v46, s7, v15
	v_mul_f16_e32 v51, 0xbaee, v15
	v_fma_f16 v23, v23, v67, v55
	v_add_f16_e32 v47, v17, v45
	v_mul_f16_e32 v46, 0xbaee, v16
	v_fma_f16 v51, v13, -0.5, v51
	v_sub_f16_e32 v55, v17, v45
	v_add_f16_e32 v17, v28, v37
	v_fma_f16 v46, v14, 0.5, v46
	v_add_f16_e32 v53, v29, v51
	v_sub_f16_e32 v51, v29, v51
	v_add_f16_e32 v29, v17, v36
	v_add_f16_e32 v17, v37, v36
	;; [unrolled: 1-line block ×3, first 2 shown]
	v_sub_f16_e32 v56, v27, v46
	v_fma_f16 v17, v17, -0.5, v28
	v_sub_f16_e32 v27, v22, v21
	v_fma_f16 v45, v27, s7, v17
	v_fma_f16 v46, v27, s6, v17
	v_add_f16_e32 v17, v73, v54
	v_add_f16_e32 v57, v17, v44
	;; [unrolled: 1-line block ×3, first 2 shown]
	v_fma_f16 v17, v17, -0.5, v73
	v_sub_f16_e32 v28, v20, v18
	v_fma_f16 v27, v28, s7, v17
	v_fma_f16 v17, v28, s6, v17
	v_add_f16_e32 v28, v20, v18
	v_fma_f16 v28, v28, -0.5, v38
	v_sub_f16_e32 v44, v54, v44
	v_fma_f16 v52, v44, s6, v28
	v_fma_f16 v28, v44, s7, v28
	v_mul_f16_e32 v44, 0xbaee, v52
	v_fma_f16 v24, v24, v58, v71
	v_add_f16_e32 v54, v29, v57
	v_fma_f16 v44, v27, 0.5, v44
	v_sub_f16_e32 v57, v29, v57
	v_add_f16_e32 v29, v50, v23
	v_add_f16_e32 v58, v45, v44
	v_sub_f16_e32 v61, v45, v44
	v_fma_f16 v29, v29, -0.5, v24
	v_sub_f16_e32 v45, v25, v26
	v_mul_f16_e32 v59, 0xbaee, v28
	v_fma_f16 v44, v45, s7, v29
	v_fma_f16 v29, v45, s6, v29
	v_add_f16_e32 v45, v25, v26
	v_fma_f16 v59, v17, -0.5, v59
	v_fma_f16 v45, v45, -0.5, v30
	v_sub_f16_e32 v67, v50, v23
	v_add_f16_e32 v60, v46, v59
	v_sub_f16_e32 v59, v46, v59
	v_fma_f16 v46, v67, s6, v45
	v_fma_f16 v45, v67, s7, v45
	v_mov_b32_e32 v67, 1
	v_lshlrev_b32_sdwa v62, v67, v62 dst_sel:DWORD dst_unused:UNUSED_PAD src0_sel:DWORD src1_sel:BYTE_0
	v_add3_u32 v49, v49, v62, v3
	ds_write_b16 v49, v47
	ds_write_b16 v49, v48 offset:20
	ds_write_b16 v49, v53 offset:40
	;; [unrolled: 1-line block ×5, first 2 shown]
	v_mad_u32_u24 v47, v63, s2, 0
	v_lshlrev_b32_sdwa v48, v67, v64 dst_sel:DWORD dst_unused:UNUSED_PAD src0_sel:DWORD src1_sel:BYTE_0
	v_add3_u32 v51, v47, v48, v3
	v_mul_lo_u16_e32 v47, 60, v65
	v_lshl_add_u32 v48, v66, 1, 0
	ds_write_b16 v51, v54
	ds_write_b16 v51, v58 offset:20
	ds_write_b16 v51, v60 offset:40
	;; [unrolled: 1-line block ×5, first 2 shown]
	s_and_saveexec_b64 s[2:3], s[0:1]
	s_cbranch_execz .LBB0_23
; %bb.22:
	v_add_f16_e32 v53, v31, v33
	v_fma_f16 v53, v53, -0.5, v10
	v_add_f16_e32 v10, v10, v31
	v_add_f16_e32 v24, v24, v50
	v_sub_f16_e32 v54, v32, v34
	v_add_f16_e32 v10, v10, v33
	v_add_f16_e32 v23, v24, v23
	v_fma_f16 v55, v54, s6, v53
	v_mul_f16_e32 v56, 0xbaee, v45
	v_fma_f16 v53, v54, s7, v53
	v_mul_f16_e32 v54, 0xbaee, v46
	v_sub_f16_e32 v24, v10, v23
	v_add_f16_e32 v10, v10, v23
	v_lshlrev_b32_e32 v23, 1, v47
	v_fma_f16 v56, v29, -0.5, v56
	v_fma_f16 v54, v44, 0.5, v54
	v_add3_u32 v23, v48, v23, v3
	v_sub_f16_e32 v57, v55, v56
	v_sub_f16_e32 v58, v53, v54
	v_add_f16_e32 v50, v55, v56
	v_add_f16_e32 v53, v53, v54
	ds_write_b16 v23, v10
	ds_write_b16 v23, v53 offset:20
	ds_write_b16 v23, v50 offset:40
	;; [unrolled: 1-line block ×5, first 2 shown]
.LBB0_23:
	s_or_b64 exec, exec, s[2:3]
	v_add_f16_e32 v23, v41, v43
	v_add_f16_e32 v10, v12, v41
	v_fma_f16 v12, v23, -0.5, v12
	v_sub_f16_e32 v23, v39, v42
	v_mul_f16_e32 v15, -0.5, v15
	v_fma_f16 v24, v23, s6, v12
	v_fma_f16 v12, v23, s7, v12
	v_add_f16_e32 v23, v35, v40
	v_fma_f16 v13, v13, s6, v15
	v_add_f16_e32 v10, v10, v43
	v_add_f16_e32 v19, v23, v19
	;; [unrolled: 1-line block ×3, first 2 shown]
	v_sub_f16_e32 v43, v12, v13
	v_add_f16_e32 v12, v22, v21
	v_add_f16_e32 v35, v10, v19
	v_mul_f16_e32 v16, 0.5, v16
	v_sub_f16_e32 v41, v10, v19
	v_add_f16_e32 v10, v11, v22
	v_fma_f16 v11, v12, -0.5, v11
	v_sub_f16_e32 v12, v37, v36
	v_fma_f16 v14, v14, s6, v16
	v_fma_f16 v13, v12, s6, v11
	;; [unrolled: 1-line block ×3, first 2 shown]
	v_add_f16_e32 v12, v38, v20
	v_add_f16_e32 v39, v24, v14
	v_sub_f16_e32 v42, v24, v14
	v_add_f16_e32 v10, v10, v21
	v_add_f16_e32 v12, v12, v18
	v_mul_f16_e32 v14, 0.5, v52
	v_mul_f16_e32 v15, -0.5, v28
	v_add_f16_e32 v36, v10, v12
	v_fma_f16 v14, v27, s6, v14
	v_fma_f16 v15, v17, s6, v15
	v_sub_f16_e32 v50, v10, v12
	v_add3_u32 v10, 0, v5, v3
	v_add_f16_e32 v37, v13, v14
	v_add_f16_e32 v38, v11, v15
	v_sub_f16_e32 v52, v13, v14
	v_sub_f16_e32 v53, v11, v15
	s_waitcnt lgkmcnt(0)
	s_barrier
	ds_read_u16 v24, v10 offset:720
	ds_read_u16 v21, v10 offset:960
	;; [unrolled: 1-line block ×3, first 2 shown]
	ds_read_u16 v11, v6
	ds_read_u16 v28, v7 offset:240
	ds_read_u16 v16, v7 offset:1920
	;; [unrolled: 1-line block ×12, first 2 shown]
	s_waitcnt lgkmcnt(0)
	s_barrier
	ds_write_b16 v49, v35
	ds_write_b16 v49, v39 offset:20
	ds_write_b16 v49, v40 offset:40
	;; [unrolled: 1-line block ×5, first 2 shown]
	ds_write_b16 v51, v36
	ds_write_b16 v51, v37 offset:20
	ds_write_b16 v51, v38 offset:40
	;; [unrolled: 1-line block ×5, first 2 shown]
	s_and_saveexec_b64 s[2:3], s[0:1]
	s_cbranch_execz .LBB0_25
; %bb.24:
	v_add_f16_e32 v5, v4, v32
	v_add_f16_e32 v32, v32, v34
	v_fma_f16 v4, v32, -0.5, v4
	v_sub_f16_e32 v31, v31, v33
	s_movk_i32 s0, 0x3aee
	s_mov_b32 s1, 0xbaee
	v_mul_f16_e32 v33, -0.5, v45
	v_fma_f16 v32, v31, s0, v4
	v_fma_f16 v4, v31, s1, v4
	v_add_f16_e32 v25, v30, v25
	v_fma_f16 v29, v29, s0, v33
	v_add_f16_e32 v5, v5, v34
	v_add_f16_e32 v25, v25, v26
	v_mul_f16_e32 v30, 0.5, v46
	v_add_f16_e32 v33, v4, v29
	v_sub_f16_e32 v4, v4, v29
	v_lshlrev_b32_e32 v29, 1, v47
	v_add_f16_e32 v26, v5, v25
	v_fma_f16 v30, v44, s0, v30
	v_add3_u32 v29, v48, v29, v3
	v_add_f16_e32 v31, v32, v30
	v_sub_f16_e32 v5, v5, v25
	v_sub_f16_e32 v25, v32, v30
	ds_write_b16 v29, v26
	ds_write_b16 v29, v31 offset:20
	ds_write_b16 v29, v33 offset:40
	;; [unrolled: 1-line block ×5, first 2 shown]
.LBB0_25:
	s_or_b64 exec, exec, s[2:3]
	v_subrev_u32_e32 v4, 60, v2
	v_cmp_gt_u32_e64 s[0:1], 60, v2
	v_mov_b32_e32 v5, 0
	s_waitcnt lgkmcnt(0)
	v_cndmask_b32_e64 v25, v4, v2, s[0:1]
	v_mul_i32_i24_e32 v4, 15, v25
	v_lshl_add_u64 v[46:47], v[4:5], 2, s[4:5]
	s_barrier
	global_load_dwordx4 v[30:33], v[46:47], off offset:200
	global_load_dwordx4 v[34:37], v[46:47], off offset:216
	;; [unrolled: 1-line block ×3, first 2 shown]
	global_load_dwordx3 v[42:44], v[46:47], off offset:248
	ds_read_u16 v4, v10 offset:960
	ds_read_u16 v26, v10 offset:1200
	ds_read_u16 v29, v6
	ds_read_u16 v45, v7 offset:240
	ds_read_u16 v46, v7 offset:1920
	;; [unrolled: 1-line block ×13, first 2 shown]
	s_mov_b32 s0, 0xb9a8
	s_movk_i32 s1, 0x39a8
	s_mov_b32 s2, 0xbb64
	s_movk_i32 s3, 0x361f
	;; [unrolled: 2-line block ×3, first 2 shown]
	s_waitcnt lgkmcnt(0)
	s_barrier
	s_waitcnt vmcnt(3)
	v_mul_f16_sdwa v58, v45, v30 dst_sel:DWORD dst_unused:UNUSED_PAD src0_sel:DWORD src1_sel:WORD_1
	v_mul_f16_sdwa v59, v28, v30 dst_sel:DWORD dst_unused:UNUSED_PAD src0_sel:DWORD src1_sel:WORD_1
	v_mul_f16_sdwa v60, v48, v31 dst_sel:DWORD dst_unused:UNUSED_PAD src0_sel:DWORD src1_sel:WORD_1
	v_mul_f16_sdwa v61, v27, v31 dst_sel:DWORD dst_unused:UNUSED_PAD src0_sel:DWORD src1_sel:WORD_1
	v_mul_f16_sdwa v64, v4, v33 dst_sel:DWORD dst_unused:UNUSED_PAD src0_sel:DWORD src1_sel:WORD_1
	v_mul_f16_sdwa v65, v21, v33 dst_sel:DWORD dst_unused:UNUSED_PAD src0_sel:DWORD src1_sel:WORD_1
	v_mul_f16_sdwa v62, v47, v32 dst_sel:DWORD dst_unused:UNUSED_PAD src0_sel:DWORD src1_sel:WORD_1
	v_mul_f16_sdwa v63, v24, v32 dst_sel:DWORD dst_unused:UNUSED_PAD src0_sel:DWORD src1_sel:WORD_1
	s_waitcnt vmcnt(2)
	v_mul_f16_sdwa v66, v26, v34 dst_sel:DWORD dst_unused:UNUSED_PAD src0_sel:DWORD src1_sel:WORD_1
	v_mul_f16_sdwa v67, v19, v34 dst_sel:DWORD dst_unused:UNUSED_PAD src0_sel:DWORD src1_sel:WORD_1
	v_mul_f16_sdwa v68, v50, v35 dst_sel:DWORD dst_unused:UNUSED_PAD src0_sel:DWORD src1_sel:WORD_1
	v_mul_f16_sdwa v69, v23, v35 dst_sel:DWORD dst_unused:UNUSED_PAD src0_sel:DWORD src1_sel:WORD_1
	v_mul_f16_sdwa v70, v51, v36 dst_sel:DWORD dst_unused:UNUSED_PAD src0_sel:DWORD src1_sel:WORD_1
	v_mul_f16_sdwa v71, v22, v36 dst_sel:DWORD dst_unused:UNUSED_PAD src0_sel:DWORD src1_sel:WORD_1
	v_mul_f16_sdwa v72, v46, v37 dst_sel:DWORD dst_unused:UNUSED_PAD src0_sel:DWORD src1_sel:WORD_1
	v_mul_f16_sdwa v73, v16, v37 dst_sel:DWORD dst_unused:UNUSED_PAD src0_sel:DWORD src1_sel:WORD_1
	s_waitcnt vmcnt(1)
	v_mul_f16_sdwa v74, v49, v38 dst_sel:DWORD dst_unused:UNUSED_PAD src0_sel:DWORD src1_sel:WORD_1
	v_mul_f16_sdwa v75, v17, v38 dst_sel:DWORD dst_unused:UNUSED_PAD src0_sel:DWORD src1_sel:WORD_1
	;; [unrolled: 1-line block ×4, first 2 shown]
	v_fma_f16 v28, v28, v30, v58
	v_mul_f16_sdwa v58, v53, v40 dst_sel:DWORD dst_unused:UNUSED_PAD src0_sel:DWORD src1_sel:WORD_1
	v_fma_f16 v30, v45, v30, -v59
	v_mul_f16_sdwa v45, v18, v40 dst_sel:DWORD dst_unused:UNUSED_PAD src0_sel:DWORD src1_sel:WORD_1
	v_fma_f16 v27, v27, v31, v60
	v_mul_f16_sdwa v59, v54, v41 dst_sel:DWORD dst_unused:UNUSED_PAD src0_sel:DWORD src1_sel:WORD_1
	v_fma_f16 v31, v48, v31, -v61
	v_mul_f16_sdwa v48, v15, v41 dst_sel:DWORD dst_unused:UNUSED_PAD src0_sel:DWORD src1_sel:WORD_1
	v_fma_f16 v21, v21, v33, v64
	s_waitcnt vmcnt(0)
	v_mul_f16_sdwa v61, v56, v43 dst_sel:DWORD dst_unused:UNUSED_PAD src0_sel:DWORD src1_sel:WORD_1
	v_fma_f16 v4, v4, v33, -v65
	v_mul_f16_sdwa v33, v13, v43 dst_sel:DWORD dst_unused:UNUSED_PAD src0_sel:DWORD src1_sel:WORD_1
	v_fma_f16 v24, v24, v32, v62
	v_mul_f16_sdwa v60, v55, v42 dst_sel:DWORD dst_unused:UNUSED_PAD src0_sel:DWORD src1_sel:WORD_1
	v_fma_f16 v32, v47, v32, -v63
	v_mul_f16_sdwa v47, v14, v42 dst_sel:DWORD dst_unused:UNUSED_PAD src0_sel:DWORD src1_sel:WORD_1
	v_mul_f16_sdwa v62, v57, v44 dst_sel:DWORD dst_unused:UNUSED_PAD src0_sel:DWORD src1_sel:WORD_1
	v_fma_f16 v19, v19, v34, v66
	v_fma_f16 v26, v26, v34, -v67
	v_fma_f16 v23, v23, v35, v68
	v_fma_f16 v34, v50, v35, -v69
	;; [unrolled: 2-line block ×10, first 2 shown]
	v_fma_f16 v42, v12, v44, v62
	v_mul_f16_sdwa v12, v12, v44 dst_sel:DWORD dst_unused:UNUSED_PAD src0_sel:DWORD src1_sel:WORD_1
	v_sub_f16_e32 v16, v11, v16
	v_sub_f16_e32 v36, v29, v36
	v_sub_f16_e32 v15, v21, v15
	v_sub_f16_e32 v40, v4, v40
	v_sub_f16_e32 v20, v27, v20
	v_sub_f16_e32 v38, v31, v38
	v_sub_f16_e32 v13, v23, v13
	v_sub_f16_e32 v33, v34, v33
	v_fma_f16 v12, v57, v44, -v12
	v_fma_f16 v21, v21, 2.0, -v15
	v_fma_f16 v4, v4, 2.0, -v40
	;; [unrolled: 1-line block ×4, first 2 shown]
	v_add_f16_e32 v40, v16, v40
	v_sub_f16_e32 v15, v36, v15
	v_add_f16_e32 v33, v20, v33
	v_sub_f16_e32 v13, v38, v13
	v_fma_f16 v11, v11, 2.0, -v16
	v_fma_f16 v29, v29, 2.0, -v36
	;; [unrolled: 1-line block ×4, first 2 shown]
	v_sub_f16_e32 v17, v28, v17
	v_sub_f16_e32 v37, v30, v37
	;; [unrolled: 1-line block ×8, first 2 shown]
	v_fma_f16 v16, v16, 2.0, -v40
	v_fma_f16 v36, v36, 2.0, -v15
	;; [unrolled: 1-line block ×8, first 2 shown]
	v_add_f16_e32 v41, v17, v41
	v_sub_f16_e32 v14, v37, v14
	v_add_f16_e32 v12, v18, v12
	v_sub_f16_e32 v42, v39, v42
	v_fma_f16 v43, v20, s0, v16
	v_fma_f16 v44, v38, s0, v36
	v_fma_f16 v28, v28, 2.0, -v17
	v_fma_f16 v30, v30, 2.0, -v37
	;; [unrolled: 1-line block ×8, first 2 shown]
	v_fma_f16 v38, v38, s1, v43
	v_fma_f16 v20, v20, s0, v44
	;; [unrolled: 1-line block ×8, first 2 shown]
	v_sub_f16_e32 v21, v11, v21
	v_sub_f16_e32 v4, v29, v4
	;; [unrolled: 1-line block ×8, first 2 shown]
	v_fma_f16 v39, v39, s1, v43
	v_fma_f16 v18, v18, s0, v44
	v_fma_f16 v27, v27, 2.0, -v23
	v_fma_f16 v31, v31, 2.0, -v34
	;; [unrolled: 1-line block ×6, first 2 shown]
	v_add_f16_e32 v34, v21, v34
	v_sub_f16_e32 v23, v4, v23
	v_fma_f16 v17, v17, 2.0, -v39
	v_fma_f16 v37, v37, 2.0, -v18
	v_add_f16_e32 v35, v19, v35
	v_sub_f16_e32 v22, v26, v22
	v_fma_f16 v43, v12, s1, v41
	v_fma_f16 v44, v42, s1, v14
	v_fma_f16 v11, v11, 2.0, -v21
	v_fma_f16 v29, v29, 2.0, -v4
	;; [unrolled: 1-line block ×8, first 2 shown]
	v_fma_f16 v42, v42, s1, v43
	v_fma_f16 v12, v12, s0, v44
	;; [unrolled: 1-line block ×8, first 2 shown]
	v_fma_f16 v40, v40, 2.0, -v13
	v_fma_f16 v15, v15, 2.0, -v33
	;; [unrolled: 1-line block ×4, first 2 shown]
	v_fma_f16 v17, v26, s1, v17
	v_fma_f16 v26, v19, s0, v44
	v_fma_f16 v19, v21, 2.0, -v17
	v_fma_f16 v44, v4, 2.0, -v26
	v_fma_f16 v4, v41, s6, v40
	v_fma_f16 v21, v14, s6, v15
	v_sub_f16_e32 v27, v11, v27
	v_sub_f16_e32 v31, v29, v31
	;; [unrolled: 1-line block ×4, first 2 shown]
	v_fma_f16 v4, v14, s7, v4
	v_fma_f16 v41, v41, s2, v21
	v_fma_f16 v30, v30, 2.0, -v32
	v_fma_f16 v14, v40, 2.0, -v4
	;; [unrolled: 1-line block ×3, first 2 shown]
	v_add_f16_e32 v15, v27, v32
	v_sub_f16_e32 v32, v31, v24
	v_fma_f16 v11, v11, 2.0, -v27
	v_fma_f16 v29, v29, 2.0, -v31
	;; [unrolled: 1-line block ×5, first 2 shown]
	v_fma_f16 v24, v39, s3, v38
	v_fma_f16 v31, v18, s3, v20
	;; [unrolled: 1-line block ×4, first 2 shown]
	v_fma_f16 v24, v38, 2.0, -v18
	v_fma_f16 v38, v20, 2.0, -v31
	v_fma_f16 v20, v35, s1, v34
	v_fma_f16 v39, v22, s1, v23
	;; [unrolled: 1-line block ×4, first 2 shown]
	v_fma_f16 v22, v34, 2.0, -v20
	v_fma_f16 v34, v23, 2.0, -v35
	v_fma_f16 v23, v42, s7, v13
	v_fma_f16 v39, v12, s7, v33
	;; [unrolled: 1-line block ×3, first 2 shown]
	v_mov_b32_e32 v23, 0x3c0
	v_cmp_lt_u32_e64 s[0:1], 59, v2
	v_sub_f16_e32 v28, v11, v28
	v_fma_f16 v11, v11, 2.0, -v28
	v_cndmask_b32_e64 v23, 0, v23, s[0:1]
	v_or_b32_e32 v23, v23, v25
	v_lshlrev_b32_e32 v23, 1, v23
	v_fma_f16 v16, v16, 2.0, -v37
	v_fma_f16 v13, v13, 2.0, -v12
	v_add3_u32 v3, 0, v23, v3
	ds_write_b16 v3, v11
	ds_write_b16 v3, v16 offset:120
	ds_write_b16 v3, v19 offset:240
	;; [unrolled: 1-line block ×15, first 2 shown]
	s_waitcnt lgkmcnt(0)
	s_barrier
	ds_read_u16 v4, v6
	ds_read_u16 v13, v10 offset:480
	ds_read_u16 v14, v10 offset:720
	;; [unrolled: 1-line block ×15, first 2 shown]
	v_sub_f16_e32 v30, v29, v30
	v_fma_f16 v29, v29, 2.0, -v30
	v_fma_f16 v39, v42, s6, v39
	s_movk_i32 s2, 0x3c0
	v_fma_f16 v36, v36, 2.0, -v43
	v_fma_f16 v33, v33, 2.0, -v39
	s_waitcnt lgkmcnt(0)
	s_barrier
	ds_write_b16 v3, v29
	ds_write_b16 v3, v36 offset:120
	ds_write_b16 v3, v44 offset:240
	;; [unrolled: 1-line block ×15, first 2 shown]
	s_waitcnt lgkmcnt(0)
	s_barrier
	s_and_saveexec_b64 s[0:1], vcc
	s_cbranch_execz .LBB0_27
; %bb.26:
	v_mov_b32_e32 v3, v5
	v_lshl_add_u64 v[26:27], v[2:3], 2, s[4:5]
	v_add_co_u32_e32 v28, vcc, 0x1000, v26
	s_mov_b32 s3, 0x88888889
	s_nop 0
	v_addc_co_u32_e32 v29, vcc, 0, v27, vcc
	global_load_dword v3, v[28:29], off offset:3064
	global_load_dword v5, v[28:29], off offset:2584
	;; [unrolled: 1-line block ×8, first 2 shown]
	ds_read_u16 v26, v10 offset:3600
	ds_read_u16 v27, v10 offset:3360
	;; [unrolled: 1-line block ×14, first 2 shown]
	ds_read_u16 v6, v6
	s_waitcnt vmcnt(7)
	v_lshrrev_b32_e32 v45, 16, v3
	v_mul_f16_e32 v46, v25, v3
	s_waitcnt vmcnt(6)
	v_lshrrev_b32_e32 v47, 16, v5
	v_mul_f16_e32 v48, v24, v5
	s_waitcnt vmcnt(5)
	v_lshrrev_b32_e32 v49, 16, v30
	s_waitcnt lgkmcnt(14)
	v_fma_f16 v46, v26, v45, v46
	v_mul_f16_e32 v25, v25, v45
	s_waitcnt lgkmcnt(13)
	v_fma_f16 v45, v27, v47, v48
	v_mul_f16_e32 v24, v24, v47
	v_mul_f16_e32 v50, v23, v30
	;; [unrolled: 1-line block ×3, first 2 shown]
	v_fma_f16 v3, v26, v3, -v25
	v_sub_f16_e32 v25, v18, v45
	v_fma_f16 v5, v27, v5, -v24
	s_waitcnt lgkmcnt(12)
	v_fma_f16 v23, v28, v30, -v23
	s_waitcnt lgkmcnt(8)
	v_sub_f16_e32 v30, v38, v3
	v_fma_f16 v3, v18, 2.0, -v25
	s_waitcnt lgkmcnt(7)
	v_sub_f16_e32 v18, v39, v5
	ds_read_u16 v5, v7 offset:240
	s_waitcnt vmcnt(1)
	v_lshrrev_b32_e32 v57, 16, v34
	v_mul_f16_e32 v7, v12, v57
	s_waitcnt lgkmcnt(3)
	v_fma_f16 v7, v43, v34, -v7
	v_mul_f16_e32 v58, v12, v34
	s_waitcnt lgkmcnt(0)
	v_sub_f16_e32 v12, v5, v7
	v_lshrrev_b32_e32 v51, 16, v31
	v_fma_f16 v34, v5, 2.0, -v12
	s_waitcnt vmcnt(0)
	v_lshrrev_b32_e32 v5, 16, v35
	v_mul_f16_e32 v7, v11, v35
	v_mul_f16_e32 v52, v20, v31
	v_lshrrev_b32_e32 v53, 16, v32
	v_mul_f16_e32 v20, v20, v51
	v_fma_f16 v7, v44, v5, v7
	v_mul_f16_e32 v54, v22, v32
	v_mul_f16_e32 v22, v22, v53
	v_fma_f16 v20, v29, v31, -v20
	v_fma_f16 v31, v38, 2.0, -v30
	v_sub_f16_e32 v38, v4, v7
	v_fma_f16 v22, v36, v32, -v22
	v_fma_f16 v32, v39, 2.0, -v18
	v_fma_f16 v39, v4, 2.0, -v38
	v_mul_f16_e32 v4, v11, v5
	v_fma_f16 v4, v44, v35, -v4
	v_sub_f16_e32 v11, v6, v4
	v_mad_u64_u32 v[4:5], s[0:1], s8, v2, 0
	v_fma_f16 v35, v6, 2.0, -v11
	v_mov_b32_e32 v6, v5
	v_mad_u64_u32 v[6:7], s[0:1], s9, v2, v[6:7]
	v_mov_b32_e32 v5, v6
	v_lshl_add_u64 v[4:5], v[4:5], 2, v[0:1]
	v_pack_b32_f16 v6, v39, v35
	v_add_u32_e32 v7, 0x3c0, v2
	global_store_dword v[4:5], v6, off
	v_mad_u64_u32 v[4:5], s[0:1], s8, v7, 0
	v_mov_b32_e32 v6, v5
	v_mad_u64_u32 v[6:7], s[0:1], s9, v7, v[6:7]
	v_mov_b32_e32 v5, v6
	v_lshl_add_u64 v[4:5], v[4:5], 2, v[0:1]
	v_pack_b32_f16 v6, v38, v11
	global_store_dword v[4:5], v6, off
	v_mad_u64_u32 v[4:5], s[0:1], s8, v8, 0
	v_fma_f16 v48, v29, v51, v52
	v_fma_f16 v51, v43, v57, v58
	v_mov_b32_e32 v6, v5
	v_sub_f16_e32 v29, v15, v51
	v_mad_u64_u32 v[6:7], s[0:1], s9, v8, v[6:7]
	v_fma_f16 v15, v15, 2.0, -v29
	v_mov_b32_e32 v5, v6
	v_lshl_add_u64 v[4:5], v[4:5], 2, v[0:1]
	v_pack_b32_f16 v6, v15, v34
	v_add_u32_e32 v7, 0x438, v2
	global_store_dword v[4:5], v6, off
	v_mad_u64_u32 v[4:5], s[0:1], s8, v7, 0
	v_mov_b32_e32 v6, v5
	v_mad_u64_u32 v[6:7], s[0:1], s9, v7, v[6:7]
	v_mov_b32_e32 v5, v6
	v_lshrrev_b32_e32 v55, 16, v33
	v_lshl_add_u64 v[4:5], v[4:5], 2, v[0:1]
	v_pack_b32_f16 v6, v29, v12
	v_mul_f16_e32 v56, v21, v33
	v_mul_f16_e32 v21, v21, v55
	global_store_dword v[4:5], v6, off
	v_mad_u64_u32 v[4:5], s[0:1], s8, v9, 0
	v_fma_f16 v47, v28, v49, v50
	v_fma_f16 v50, v37, v55, v56
	v_fma_f16 v21, v37, v33, -v21
	v_mov_b32_e32 v6, v5
	v_sub_f16_e32 v28, v13, v50
	v_sub_f16_e32 v21, v10, v21
	v_mad_u64_u32 v[6:7], s[0:1], s9, v9, v[6:7]
	v_fma_f16 v13, v13, 2.0, -v28
	v_fma_f16 v10, v10, 2.0, -v21
	v_mov_b32_e32 v5, v6
	v_lshl_add_u64 v[4:5], v[4:5], 2, v[0:1]
	v_pack_b32_f16 v6, v13, v10
	v_add_u32_e32 v7, 0x4b0, v2
	global_store_dword v[4:5], v6, off
	v_mad_u64_u32 v[4:5], s[0:1], s8, v7, 0
	v_mov_b32_e32 v6, v5
	v_mad_u64_u32 v[6:7], s[0:1], s9, v7, v[6:7]
	v_mov_b32_e32 v5, v6
	v_lshl_add_u64 v[4:5], v[4:5], 2, v[0:1]
	v_pack_b32_f16 v6, v28, v21
	v_add_u32_e32 v7, 0x168, v2
	global_store_dword v[4:5], v6, off
	v_mad_u64_u32 v[4:5], s[0:1], s8, v7, 0
	v_fma_f16 v49, v36, v53, v54
	v_mov_b32_e32 v6, v5
	v_sub_f16_e32 v27, v14, v49
	v_sub_f16_e32 v22, v42, v22
	v_mad_u64_u32 v[6:7], s[0:1], s9, v7, v[6:7]
	v_fma_f16 v14, v14, 2.0, -v27
	v_fma_f16 v37, v42, 2.0, -v22
	v_mov_b32_e32 v5, v6
	v_lshl_add_u64 v[4:5], v[4:5], 2, v[0:1]
	v_pack_b32_f16 v6, v14, v37
	v_add_u32_e32 v7, 0x528, v2
	global_store_dword v[4:5], v6, off
	v_mad_u64_u32 v[4:5], s[0:1], s8, v7, 0
	v_mov_b32_e32 v6, v5
	v_mad_u64_u32 v[6:7], s[0:1], s9, v7, v[6:7]
	v_mov_b32_e32 v5, v6
	v_lshl_add_u64 v[4:5], v[4:5], 2, v[0:1]
	v_pack_b32_f16 v6, v27, v22
	global_store_dword v[4:5], v6, off
	v_add_u32_e32 v4, 0x1e0, v2
	v_mul_hi_u32 v5, v4, s3
	v_lshrrev_b32_e32 v5, 9, v5
	v_mad_u32_u24 v8, v5, s2, v4
	v_mad_u64_u32 v[4:5], s[0:1], s8, v8, 0
	v_mov_b32_e32 v6, v5
	v_sub_f16_e32 v26, v16, v48
	v_sub_f16_e32 v20, v41, v20
	v_mad_u64_u32 v[6:7], s[0:1], s9, v8, v[6:7]
	v_fma_f16 v16, v16, 2.0, -v26
	v_fma_f16 v36, v41, 2.0, -v20
	v_mov_b32_e32 v5, v6
	v_lshl_add_u64 v[4:5], v[4:5], 2, v[0:1]
	v_pack_b32_f16 v6, v16, v36
	v_add_u32_e32 v7, 0x3c0, v8
	global_store_dword v[4:5], v6, off
	v_mad_u64_u32 v[4:5], s[0:1], s8, v7, 0
	v_mov_b32_e32 v6, v5
	v_mad_u64_u32 v[6:7], s[0:1], s9, v7, v[6:7]
	v_mov_b32_e32 v5, v6
	v_lshl_add_u64 v[4:5], v[4:5], 2, v[0:1]
	v_pack_b32_f16 v6, v26, v20
	v_add_u32_e32 v7, 0x258, v2
	global_store_dword v[4:5], v6, off
	v_mad_u64_u32 v[4:5], s[0:1], s8, v7, 0
	v_mov_b32_e32 v6, v5
	v_sub_f16_e32 v24, v17, v47
	v_sub_f16_e32 v23, v40, v23
	v_mad_u64_u32 v[6:7], s[0:1], s9, v7, v[6:7]
	v_fma_f16 v17, v17, 2.0, -v24
	v_fma_f16 v33, v40, 2.0, -v23
	v_mov_b32_e32 v5, v6
	v_lshl_add_u64 v[4:5], v[4:5], 2, v[0:1]
	v_pack_b32_f16 v6, v17, v33
	v_add_u32_e32 v7, 0x618, v2
	global_store_dword v[4:5], v6, off
	v_mad_u64_u32 v[4:5], s[0:1], s8, v7, 0
	v_mov_b32_e32 v6, v5
	v_mad_u64_u32 v[6:7], s[0:1], s9, v7, v[6:7]
	v_mov_b32_e32 v5, v6
	v_lshl_add_u64 v[4:5], v[4:5], 2, v[0:1]
	v_pack_b32_f16 v6, v24, v23
	global_store_dword v[4:5], v6, off
	v_add_u32_e32 v4, 0x2d0, v2
	v_mul_hi_u32 v5, v4, s3
	v_lshrrev_b32_e32 v5, 9, v5
	v_mad_u32_u24 v8, v5, s2, v4
	v_mad_u64_u32 v[4:5], s[0:1], s8, v8, 0
	v_mov_b32_e32 v6, v5
	v_mad_u64_u32 v[6:7], s[0:1], s9, v8, v[6:7]
	v_mov_b32_e32 v5, v6
	v_lshl_add_u64 v[4:5], v[4:5], 2, v[0:1]
	v_pack_b32_f16 v3, v3, v32
	global_store_dword v[4:5], v3, off
	v_add_u32_e32 v3, 0x3c0, v8
	v_mad_u64_u32 v[4:5], s[0:1], s8, v3, 0
	v_mov_b32_e32 v6, v5
	v_mad_u64_u32 v[6:7], s[0:1], s9, v3, v[6:7]
	v_mov_b32_e32 v5, v6
	v_lshl_add_u64 v[4:5], v[4:5], 2, v[0:1]
	v_pack_b32_f16 v3, v25, v18
	v_add_u32_e32 v2, 0x348, v2
	global_store_dword v[4:5], v3, off
	v_mul_hi_u32 v3, v2, s3
	v_lshrrev_b32_e32 v3, 9, v3
	v_mad_u32_u24 v6, v3, s2, v2
	v_mad_u64_u32 v[2:3], s[0:1], s8, v6, 0
	v_mov_b32_e32 v4, v3
	v_sub_f16_e32 v46, v19, v46
	v_mad_u64_u32 v[4:5], s[0:1], s9, v6, v[4:5]
	v_fma_f16 v19, v19, 2.0, -v46
	v_mov_b32_e32 v3, v4
	v_lshl_add_u64 v[2:3], v[2:3], 2, v[0:1]
	v_pack_b32_f16 v4, v19, v31
	v_add_u32_e32 v5, 0x3c0, v6
	global_store_dword v[2:3], v4, off
	v_mad_u64_u32 v[2:3], s[0:1], s8, v5, 0
	v_mov_b32_e32 v4, v3
	v_mad_u64_u32 v[4:5], s[0:1], s9, v5, v[4:5]
	v_mov_b32_e32 v3, v4
	v_lshl_add_u64 v[0:1], v[2:3], 2, v[0:1]
	v_pack_b32_f16 v2, v46, v30
	global_store_dword v[0:1], v2, off
.LBB0_27:
	s_endpgm
	.section	.rodata,"a",@progbits
	.p2align	6, 0x0
	.amdhsa_kernel fft_rtc_back_len1920_factors_10_6_16_2_wgs_240_tpt_120_halfLds_half_ip_CI_sbrr_dirReg
		.amdhsa_group_segment_fixed_size 0
		.amdhsa_private_segment_fixed_size 0
		.amdhsa_kernarg_size 88
		.amdhsa_user_sgpr_count 2
		.amdhsa_user_sgpr_dispatch_ptr 0
		.amdhsa_user_sgpr_queue_ptr 0
		.amdhsa_user_sgpr_kernarg_segment_ptr 1
		.amdhsa_user_sgpr_dispatch_id 0
		.amdhsa_user_sgpr_kernarg_preload_length 0
		.amdhsa_user_sgpr_kernarg_preload_offset 0
		.amdhsa_user_sgpr_private_segment_size 0
		.amdhsa_uses_dynamic_stack 0
		.amdhsa_enable_private_segment 0
		.amdhsa_system_sgpr_workgroup_id_x 1
		.amdhsa_system_sgpr_workgroup_id_y 0
		.amdhsa_system_sgpr_workgroup_id_z 0
		.amdhsa_system_sgpr_workgroup_info 0
		.amdhsa_system_vgpr_workitem_id 0
		.amdhsa_next_free_vgpr 78
		.amdhsa_next_free_sgpr 24
		.amdhsa_accum_offset 80
		.amdhsa_reserve_vcc 1
		.amdhsa_float_round_mode_32 0
		.amdhsa_float_round_mode_16_64 0
		.amdhsa_float_denorm_mode_32 3
		.amdhsa_float_denorm_mode_16_64 3
		.amdhsa_dx10_clamp 1
		.amdhsa_ieee_mode 1
		.amdhsa_fp16_overflow 0
		.amdhsa_tg_split 0
		.amdhsa_exception_fp_ieee_invalid_op 0
		.amdhsa_exception_fp_denorm_src 0
		.amdhsa_exception_fp_ieee_div_zero 0
		.amdhsa_exception_fp_ieee_overflow 0
		.amdhsa_exception_fp_ieee_underflow 0
		.amdhsa_exception_fp_ieee_inexact 0
		.amdhsa_exception_int_div_zero 0
	.end_amdhsa_kernel
	.text
.Lfunc_end0:
	.size	fft_rtc_back_len1920_factors_10_6_16_2_wgs_240_tpt_120_halfLds_half_ip_CI_sbrr_dirReg, .Lfunc_end0-fft_rtc_back_len1920_factors_10_6_16_2_wgs_240_tpt_120_halfLds_half_ip_CI_sbrr_dirReg
                                        ; -- End function
	.section	.AMDGPU.csdata,"",@progbits
; Kernel info:
; codeLenInByte = 10852
; NumSgprs: 30
; NumVgprs: 78
; NumAgprs: 0
; TotalNumVgprs: 78
; ScratchSize: 0
; MemoryBound: 0
; FloatMode: 240
; IeeeMode: 1
; LDSByteSize: 0 bytes/workgroup (compile time only)
; SGPRBlocks: 3
; VGPRBlocks: 9
; NumSGPRsForWavesPerEU: 30
; NumVGPRsForWavesPerEU: 78
; AccumOffset: 80
; Occupancy: 6
; WaveLimiterHint : 1
; COMPUTE_PGM_RSRC2:SCRATCH_EN: 0
; COMPUTE_PGM_RSRC2:USER_SGPR: 2
; COMPUTE_PGM_RSRC2:TRAP_HANDLER: 0
; COMPUTE_PGM_RSRC2:TGID_X_EN: 1
; COMPUTE_PGM_RSRC2:TGID_Y_EN: 0
; COMPUTE_PGM_RSRC2:TGID_Z_EN: 0
; COMPUTE_PGM_RSRC2:TIDIG_COMP_CNT: 0
; COMPUTE_PGM_RSRC3_GFX90A:ACCUM_OFFSET: 19
; COMPUTE_PGM_RSRC3_GFX90A:TG_SPLIT: 0
	.text
	.p2alignl 6, 3212836864
	.fill 256, 4, 3212836864
	.type	__hip_cuid_c489c6b66929269c,@object ; @__hip_cuid_c489c6b66929269c
	.section	.bss,"aw",@nobits
	.globl	__hip_cuid_c489c6b66929269c
__hip_cuid_c489c6b66929269c:
	.byte	0                               ; 0x0
	.size	__hip_cuid_c489c6b66929269c, 1

	.ident	"AMD clang version 19.0.0git (https://github.com/RadeonOpenCompute/llvm-project roc-6.4.0 25133 c7fe45cf4b819c5991fe208aaa96edf142730f1d)"
	.section	".note.GNU-stack","",@progbits
	.addrsig
	.addrsig_sym __hip_cuid_c489c6b66929269c
	.amdgpu_metadata
---
amdhsa.kernels:
  - .agpr_count:     0
    .args:
      - .actual_access:  read_only
        .address_space:  global
        .offset:         0
        .size:           8
        .value_kind:     global_buffer
      - .offset:         8
        .size:           8
        .value_kind:     by_value
      - .actual_access:  read_only
        .address_space:  global
        .offset:         16
        .size:           8
        .value_kind:     global_buffer
      - .actual_access:  read_only
        .address_space:  global
        .offset:         24
        .size:           8
        .value_kind:     global_buffer
      - .offset:         32
        .size:           8
        .value_kind:     by_value
      - .actual_access:  read_only
        .address_space:  global
        .offset:         40
        .size:           8
        .value_kind:     global_buffer
      - .actual_access:  read_only
        .address_space:  global
        .offset:         48
        .size:           8
        .value_kind:     global_buffer
      - .offset:         56
        .size:           4
        .value_kind:     by_value
      - .actual_access:  read_only
        .address_space:  global
        .offset:         64
        .size:           8
        .value_kind:     global_buffer
      - .actual_access:  read_only
        .address_space:  global
        .offset:         72
        .size:           8
        .value_kind:     global_buffer
      - .address_space:  global
        .offset:         80
        .size:           8
        .value_kind:     global_buffer
    .group_segment_fixed_size: 0
    .kernarg_segment_align: 8
    .kernarg_segment_size: 88
    .language:       OpenCL C
    .language_version:
      - 2
      - 0
    .max_flat_workgroup_size: 240
    .name:           fft_rtc_back_len1920_factors_10_6_16_2_wgs_240_tpt_120_halfLds_half_ip_CI_sbrr_dirReg
    .private_segment_fixed_size: 0
    .sgpr_count:     30
    .sgpr_spill_count: 0
    .symbol:         fft_rtc_back_len1920_factors_10_6_16_2_wgs_240_tpt_120_halfLds_half_ip_CI_sbrr_dirReg.kd
    .uniform_work_group_size: 1
    .uses_dynamic_stack: false
    .vgpr_count:     78
    .vgpr_spill_count: 0
    .wavefront_size: 64
amdhsa.target:   amdgcn-amd-amdhsa--gfx950
amdhsa.version:
  - 1
  - 2
...

	.end_amdgpu_metadata
